;; amdgpu-corpus repo=ROCm/rocFFT kind=compiled arch=gfx906 opt=O3
	.text
	.amdgcn_target "amdgcn-amd-amdhsa--gfx906"
	.amdhsa_code_object_version 6
	.protected	fft_rtc_back_len648_factors_8_3_3_3_3_wgs_216_tpt_216_halfLds_dp_op_CI_CI_sbrr_dirReg ; -- Begin function fft_rtc_back_len648_factors_8_3_3_3_3_wgs_216_tpt_216_halfLds_dp_op_CI_CI_sbrr_dirReg
	.globl	fft_rtc_back_len648_factors_8_3_3_3_3_wgs_216_tpt_216_halfLds_dp_op_CI_CI_sbrr_dirReg
	.p2align	8
	.type	fft_rtc_back_len648_factors_8_3_3_3_3_wgs_216_tpt_216_halfLds_dp_op_CI_CI_sbrr_dirReg,@function
fft_rtc_back_len648_factors_8_3_3_3_3_wgs_216_tpt_216_halfLds_dp_op_CI_CI_sbrr_dirReg: ; @fft_rtc_back_len648_factors_8_3_3_3_3_wgs_216_tpt_216_halfLds_dp_op_CI_CI_sbrr_dirReg
; %bb.0:
	s_load_dwordx4 s[16:19], s[4:5], 0x18
	s_load_dwordx4 s[12:15], s[4:5], 0x0
	;; [unrolled: 1-line block ×3, first 2 shown]
	v_mul_u32_u24_e32 v1, 0x130, v0
	v_add_u32_sdwa v3, s6, v1 dst_sel:DWORD dst_unused:UNUSED_PAD src0_sel:DWORD src1_sel:WORD_1
	s_waitcnt lgkmcnt(0)
	s_load_dwordx2 s[20:21], s[16:17], 0x0
	s_load_dwordx2 s[2:3], s[18:19], 0x0
	v_cmp_lt_u64_e64 s[0:1], s[14:15], 2
	v_mov_b32_e32 v1, 0
	v_mov_b32_e32 v36, 0
	;; [unrolled: 1-line block ×3, first 2 shown]
	s_and_b64 vcc, exec, s[0:1]
	v_mov_b32_e32 v37, 0
	s_cbranch_vccnz .LBB0_8
; %bb.1:
	s_load_dwordx2 s[0:1], s[4:5], 0x10
	s_add_u32 s6, s18, 8
	s_addc_u32 s7, s19, 0
	s_add_u32 s22, s16, 8
	s_addc_u32 s23, s17, 0
	v_mov_b32_e32 v36, 0
	s_waitcnt lgkmcnt(0)
	s_add_u32 s24, s0, 8
	v_mov_b32_e32 v37, 0
	v_mov_b32_e32 v32, v36
	s_addc_u32 s25, s1, 0
	s_mov_b64 s[26:27], 1
	v_mov_b32_e32 v33, v37
.LBB0_2:                                ; =>This Inner Loop Header: Depth=1
	s_load_dwordx2 s[28:29], s[24:25], 0x0
                                        ; implicit-def: $vgpr34_vgpr35
	s_waitcnt lgkmcnt(0)
	v_or_b32_e32 v2, s29, v4
	v_cmp_ne_u64_e32 vcc, 0, v[1:2]
	s_and_saveexec_b64 s[0:1], vcc
	s_xor_b64 s[30:31], exec, s[0:1]
	s_cbranch_execz .LBB0_4
; %bb.3:                                ;   in Loop: Header=BB0_2 Depth=1
	v_cvt_f32_u32_e32 v2, s28
	v_cvt_f32_u32_e32 v5, s29
	s_sub_u32 s0, 0, s28
	s_subb_u32 s1, 0, s29
	v_mac_f32_e32 v2, 0x4f800000, v5
	v_rcp_f32_e32 v2, v2
	v_mul_f32_e32 v2, 0x5f7ffffc, v2
	v_mul_f32_e32 v5, 0x2f800000, v2
	v_trunc_f32_e32 v5, v5
	v_mac_f32_e32 v2, 0xcf800000, v5
	v_cvt_u32_f32_e32 v5, v5
	v_cvt_u32_f32_e32 v2, v2
	v_mul_lo_u32 v6, s0, v5
	v_mul_hi_u32 v7, s0, v2
	v_mul_lo_u32 v9, s1, v2
	v_mul_lo_u32 v8, s0, v2
	v_add_u32_e32 v6, v7, v6
	v_add_u32_e32 v6, v6, v9
	v_mul_hi_u32 v7, v2, v8
	v_mul_lo_u32 v9, v2, v6
	v_mul_hi_u32 v11, v2, v6
	v_mul_hi_u32 v10, v5, v8
	v_mul_lo_u32 v8, v5, v8
	v_mul_hi_u32 v12, v5, v6
	v_add_co_u32_e32 v7, vcc, v7, v9
	v_addc_co_u32_e32 v9, vcc, 0, v11, vcc
	v_mul_lo_u32 v6, v5, v6
	v_add_co_u32_e32 v7, vcc, v7, v8
	v_addc_co_u32_e32 v7, vcc, v9, v10, vcc
	v_addc_co_u32_e32 v8, vcc, 0, v12, vcc
	v_add_co_u32_e32 v6, vcc, v7, v6
	v_addc_co_u32_e32 v7, vcc, 0, v8, vcc
	v_add_co_u32_e32 v2, vcc, v2, v6
	v_addc_co_u32_e32 v5, vcc, v5, v7, vcc
	v_mul_lo_u32 v6, s0, v5
	v_mul_hi_u32 v7, s0, v2
	v_mul_lo_u32 v8, s1, v2
	v_mul_lo_u32 v9, s0, v2
	v_add_u32_e32 v6, v7, v6
	v_add_u32_e32 v6, v6, v8
	v_mul_lo_u32 v10, v2, v6
	v_mul_hi_u32 v11, v2, v9
	v_mul_hi_u32 v12, v2, v6
	;; [unrolled: 1-line block ×3, first 2 shown]
	v_mul_lo_u32 v9, v5, v9
	v_mul_hi_u32 v7, v5, v6
	v_add_co_u32_e32 v10, vcc, v11, v10
	v_addc_co_u32_e32 v11, vcc, 0, v12, vcc
	v_mul_lo_u32 v6, v5, v6
	v_add_co_u32_e32 v9, vcc, v10, v9
	v_addc_co_u32_e32 v8, vcc, v11, v8, vcc
	v_addc_co_u32_e32 v7, vcc, 0, v7, vcc
	v_add_co_u32_e32 v6, vcc, v8, v6
	v_addc_co_u32_e32 v7, vcc, 0, v7, vcc
	v_add_co_u32_e32 v2, vcc, v2, v6
	v_addc_co_u32_e32 v7, vcc, v5, v7, vcc
	v_mad_u64_u32 v[5:6], s[0:1], v3, v7, 0
	v_mul_hi_u32 v8, v3, v2
	v_add_co_u32_e32 v9, vcc, v8, v5
	v_addc_co_u32_e32 v10, vcc, 0, v6, vcc
	v_mad_u64_u32 v[5:6], s[0:1], v4, v2, 0
	v_mad_u64_u32 v[7:8], s[0:1], v4, v7, 0
	v_add_co_u32_e32 v2, vcc, v9, v5
	v_addc_co_u32_e32 v2, vcc, v10, v6, vcc
	v_addc_co_u32_e32 v5, vcc, 0, v8, vcc
	v_add_co_u32_e32 v2, vcc, v2, v7
	v_addc_co_u32_e32 v7, vcc, 0, v5, vcc
	v_mul_lo_u32 v8, s29, v2
	v_mul_lo_u32 v9, s28, v7
	v_mad_u64_u32 v[5:6], s[0:1], s28, v2, 0
	v_add3_u32 v6, v6, v9, v8
	v_sub_u32_e32 v8, v4, v6
	v_mov_b32_e32 v9, s29
	v_sub_co_u32_e32 v5, vcc, v3, v5
	v_subb_co_u32_e64 v8, s[0:1], v8, v9, vcc
	v_subrev_co_u32_e64 v9, s[0:1], s28, v5
	v_subbrev_co_u32_e64 v8, s[0:1], 0, v8, s[0:1]
	v_cmp_le_u32_e64 s[0:1], s29, v8
	v_cndmask_b32_e64 v10, 0, -1, s[0:1]
	v_cmp_le_u32_e64 s[0:1], s28, v9
	v_cndmask_b32_e64 v9, 0, -1, s[0:1]
	v_cmp_eq_u32_e64 s[0:1], s29, v8
	v_cndmask_b32_e64 v8, v10, v9, s[0:1]
	v_add_co_u32_e64 v9, s[0:1], 2, v2
	v_addc_co_u32_e64 v10, s[0:1], 0, v7, s[0:1]
	v_add_co_u32_e64 v11, s[0:1], 1, v2
	v_addc_co_u32_e64 v12, s[0:1], 0, v7, s[0:1]
	v_subb_co_u32_e32 v6, vcc, v4, v6, vcc
	v_cmp_ne_u32_e64 s[0:1], 0, v8
	v_cmp_le_u32_e32 vcc, s29, v6
	v_cndmask_b32_e64 v8, v12, v10, s[0:1]
	v_cndmask_b32_e64 v10, 0, -1, vcc
	v_cmp_le_u32_e32 vcc, s28, v5
	v_cndmask_b32_e64 v5, 0, -1, vcc
	v_cmp_eq_u32_e32 vcc, s29, v6
	v_cndmask_b32_e32 v5, v10, v5, vcc
	v_cmp_ne_u32_e32 vcc, 0, v5
	v_cndmask_b32_e64 v5, v11, v9, s[0:1]
	v_cndmask_b32_e32 v35, v7, v8, vcc
	v_cndmask_b32_e32 v34, v2, v5, vcc
.LBB0_4:                                ;   in Loop: Header=BB0_2 Depth=1
	s_andn2_saveexec_b64 s[0:1], s[30:31]
	s_cbranch_execz .LBB0_6
; %bb.5:                                ;   in Loop: Header=BB0_2 Depth=1
	v_cvt_f32_u32_e32 v2, s28
	s_sub_i32 s30, 0, s28
	v_mov_b32_e32 v35, v1
	v_rcp_iflag_f32_e32 v2, v2
	v_mul_f32_e32 v2, 0x4f7ffffe, v2
	v_cvt_u32_f32_e32 v2, v2
	v_mul_lo_u32 v5, s30, v2
	v_mul_hi_u32 v5, v2, v5
	v_add_u32_e32 v2, v2, v5
	v_mul_hi_u32 v2, v3, v2
	v_mul_lo_u32 v5, v2, s28
	v_add_u32_e32 v6, 1, v2
	v_sub_u32_e32 v5, v3, v5
	v_subrev_u32_e32 v7, s28, v5
	v_cmp_le_u32_e32 vcc, s28, v5
	v_cndmask_b32_e32 v5, v5, v7, vcc
	v_cndmask_b32_e32 v2, v2, v6, vcc
	v_add_u32_e32 v6, 1, v2
	v_cmp_le_u32_e32 vcc, s28, v5
	v_cndmask_b32_e32 v34, v2, v6, vcc
.LBB0_6:                                ;   in Loop: Header=BB0_2 Depth=1
	s_or_b64 exec, exec, s[0:1]
	v_mul_lo_u32 v2, v35, s28
	v_mul_lo_u32 v7, v34, s29
	v_mad_u64_u32 v[5:6], s[0:1], v34, s28, 0
	s_load_dwordx2 s[0:1], s[22:23], 0x0
	s_load_dwordx2 s[28:29], s[6:7], 0x0
	v_add3_u32 v2, v6, v7, v2
	v_sub_co_u32_e32 v3, vcc, v3, v5
	v_subb_co_u32_e32 v2, vcc, v4, v2, vcc
	s_waitcnt lgkmcnt(0)
	v_mul_lo_u32 v4, s0, v2
	v_mul_lo_u32 v5, s1, v3
	v_mad_u64_u32 v[36:37], s[0:1], s0, v3, v[36:37]
	v_mul_lo_u32 v2, s28, v2
	v_mul_lo_u32 v6, s29, v3
	v_mad_u64_u32 v[32:33], s[0:1], s28, v3, v[32:33]
	s_add_u32 s26, s26, 1
	s_addc_u32 s27, s27, 0
	s_add_u32 s6, s6, 8
	v_add3_u32 v33, v6, v33, v2
	s_addc_u32 s7, s7, 0
	v_mov_b32_e32 v2, s14
	s_add_u32 s22, s22, 8
	v_mov_b32_e32 v3, s15
	s_addc_u32 s23, s23, 0
	v_cmp_ge_u64_e32 vcc, s[26:27], v[2:3]
	s_add_u32 s24, s24, 8
	v_add3_u32 v37, v5, v37, v4
	s_addc_u32 s25, s25, 0
	s_cbranch_vccnz .LBB0_9
; %bb.7:                                ;   in Loop: Header=BB0_2 Depth=1
	v_mov_b32_e32 v3, v34
	v_mov_b32_e32 v4, v35
	s_branch .LBB0_2
.LBB0_8:
	v_mov_b32_e32 v32, v36
	v_mov_b32_e32 v35, v4
	;; [unrolled: 1-line block ×4, first 2 shown]
.LBB0_9:
	s_lshl_b64 s[22:23], s[14:15], 3
	s_load_dwordx2 s[0:1], s[4:5], 0x28
	s_add_u32 s4, s18, s22
	s_mov_b32 s5, 0x12f684c
	v_mul_hi_u32 v1, v0, s5
	s_addc_u32 s5, s19, s23
	s_load_dwordx2 s[4:5], s[4:5], 0x0
	s_waitcnt lgkmcnt(0)
	v_cmp_gt_u64_e32 vcc, s[0:1], v[34:35]
	v_mul_u32_u24_e32 v1, 0xd8, v1
	v_sub_u32_e32 v40, v0, v1
	v_mov_b32_e32 v41, 0
                                        ; implicit-def: $vgpr18_vgpr19
                                        ; implicit-def: $vgpr22_vgpr23
                                        ; implicit-def: $vgpr10_vgpr11
                                        ; implicit-def: $vgpr14_vgpr15
                                        ; implicit-def: $vgpr26_vgpr27
                                        ; implicit-def: $vgpr30_vgpr31
                                        ; implicit-def: $vgpr6_vgpr7
                                        ; implicit-def: $vgpr2_vgpr3
	s_and_saveexec_b64 s[6:7], vcc
	s_cbranch_execz .LBB0_13
; %bb.10:
	s_movk_i32 s0, 0x51
	v_cmp_gt_u32_e64 s[0:1], s0, v40
                                        ; implicit-def: $vgpr0_vgpr1
                                        ; implicit-def: $vgpr4_vgpr5
                                        ; implicit-def: $vgpr28_vgpr29
                                        ; implicit-def: $vgpr24_vgpr25
                                        ; implicit-def: $vgpr12_vgpr13
                                        ; implicit-def: $vgpr8_vgpr9
                                        ; implicit-def: $vgpr20_vgpr21
                                        ; implicit-def: $vgpr16_vgpr17
	s_and_saveexec_b64 s[14:15], s[0:1]
	s_cbranch_execz .LBB0_12
; %bb.11:
	s_add_u32 s0, s16, s22
	s_addc_u32 s1, s17, s23
	s_load_dwordx2 s[0:1], s[0:1], 0x0
	v_mad_u64_u32 v[0:1], s[16:17], s20, v40, 0
	v_add_u32_e32 v8, 0x51, v40
	s_waitcnt lgkmcnt(0)
	v_mul_lo_u32 v6, s1, v34
	v_mul_lo_u32 v7, s0, v35
	v_mad_u64_u32 v[2:3], s[0:1], s0, v34, 0
	v_mad_u64_u32 v[4:5], s[0:1], s21, v40, v[1:2]
	v_add3_u32 v3, v3, v7, v6
	v_lshlrev_b64 v[2:3], 4, v[2:3]
	v_mov_b32_e32 v1, v4
	v_mov_b32_e32 v4, s9
	v_add_co_u32_e64 v6, s[0:1], s8, v2
	v_addc_co_u32_e64 v7, s[0:1], v4, v3, s[0:1]
	v_mad_u64_u32 v[4:5], s[0:1], s20, v8, 0
	v_lshlrev_b64 v[2:3], 4, v[36:37]
	v_lshlrev_b64 v[0:1], 4, v[0:1]
	v_add_co_u32_e64 v9, s[0:1], v6, v2
	v_mov_b32_e32 v2, v5
	v_addc_co_u32_e64 v10, s[0:1], v7, v3, s[0:1]
	v_mad_u64_u32 v[2:3], s[0:1], s21, v8, v[2:3]
	v_add_u32_e32 v3, 0xa2, v40
	v_mad_u64_u32 v[6:7], s[0:1], s20, v3, 0
	v_add_co_u32_e64 v36, s[0:1], v9, v0
	v_mov_b32_e32 v5, v2
	v_mov_b32_e32 v2, v7
	v_addc_co_u32_e64 v37, s[0:1], v10, v1, s[0:1]
	v_lshlrev_b64 v[0:1], 4, v[4:5]
	v_mad_u64_u32 v[2:3], s[0:1], s21, v3, v[2:3]
	v_add_u32_e32 v5, 0xf3, v40
	v_mad_u64_u32 v[3:4], s[0:1], s20, v5, 0
	v_add_co_u32_e64 v38, s[0:1], v9, v0
	v_mov_b32_e32 v7, v2
	v_mov_b32_e32 v2, v4
	v_addc_co_u32_e64 v39, s[0:1], v10, v1, s[0:1]
	v_lshlrev_b64 v[0:1], 4, v[6:7]
	v_mad_u64_u32 v[4:5], s[0:1], s21, v5, v[2:3]
	v_add_u32_e32 v7, 0x144, v40
	v_mad_u64_u32 v[5:6], s[0:1], s20, v7, 0
	v_add_co_u32_e64 v41, s[0:1], v9, v0
	v_mov_b32_e32 v2, v6
	v_addc_co_u32_e64 v42, s[0:1], v10, v1, s[0:1]
	v_lshlrev_b64 v[0:1], 4, v[3:4]
	v_mad_u64_u32 v[2:3], s[0:1], s21, v7, v[2:3]
	v_add_u32_e32 v7, 0x195, v40
	v_mad_u64_u32 v[3:4], s[0:1], s20, v7, 0
	v_add_co_u32_e64 v43, s[0:1], v9, v0
	v_mov_b32_e32 v6, v2
	v_mov_b32_e32 v2, v4
	v_addc_co_u32_e64 v44, s[0:1], v10, v1, s[0:1]
	v_lshlrev_b64 v[0:1], 4, v[5:6]
	v_mad_u64_u32 v[4:5], s[0:1], s21, v7, v[2:3]
	v_add_u32_e32 v7, 0x1e6, v40
	v_mad_u64_u32 v[5:6], s[0:1], s20, v7, 0
	v_add_co_u32_e64 v45, s[0:1], v9, v0
	v_mov_b32_e32 v2, v6
	v_addc_co_u32_e64 v46, s[0:1], v10, v1, s[0:1]
	v_lshlrev_b64 v[0:1], 4, v[3:4]
	v_mad_u64_u32 v[2:3], s[0:1], s21, v7, v[2:3]
	v_add_u32_e32 v7, 0x237, v40
	v_mad_u64_u32 v[3:4], s[0:1], s20, v7, 0
	v_add_co_u32_e64 v47, s[0:1], v9, v0
	v_mov_b32_e32 v6, v2
	v_mov_b32_e32 v2, v4
	v_addc_co_u32_e64 v48, s[0:1], v10, v1, s[0:1]
	v_lshlrev_b64 v[0:1], 4, v[5:6]
	v_mad_u64_u32 v[4:5], s[0:1], s21, v7, v[2:3]
	v_add_co_u32_e64 v49, s[0:1], v9, v0
	v_addc_co_u32_e64 v50, s[0:1], v10, v1, s[0:1]
	v_lshlrev_b64 v[0:1], 4, v[3:4]
	v_add_co_u32_e64 v51, s[0:1], v9, v0
	v_addc_co_u32_e64 v52, s[0:1], v10, v1, s[0:1]
	global_load_dwordx4 v[0:3], v[36:37], off
	global_load_dwordx4 v[16:19], v[38:39], off
	;; [unrolled: 1-line block ×8, first 2 shown]
.LBB0_12:
	s_or_b64 exec, exec, s[14:15]
	v_mov_b32_e32 v41, v40
.LBB0_13:
	s_or_b64 exec, exec, s[6:7]
	s_waitcnt vmcnt(2)
	v_add_f64 v[36:37], v[16:17], -v[28:29]
	v_add_f64 v[30:31], v[18:19], -v[30:31]
	s_waitcnt vmcnt(0)
	v_add_f64 v[28:29], v[22:23], -v[26:27]
	v_add_f64 v[24:25], v[20:21], -v[24:25]
	s_mov_b32 s0, 0x667f3bcd
	s_mov_b32 s1, 0x3fe6a09e
	v_fma_f64 v[38:39], v[16:17], 2.0, -v[36:37]
	v_fma_f64 v[26:27], v[18:19], 2.0, -v[30:31]
	v_add_f64 v[42:43], v[28:29], v[36:37]
	v_add_f64 v[44:45], v[30:31], -v[24:25]
	v_fma_f64 v[16:17], v[20:21], 2.0, -v[24:25]
	v_fma_f64 v[18:19], v[22:23], 2.0, -v[28:29]
	v_add_f64 v[28:29], v[4:5], -v[12:13]
	v_fma_f64 v[12:13], v[36:37], 2.0, -v[42:43]
	v_fma_f64 v[22:23], v[30:31], 2.0, -v[44:45]
	v_add_f64 v[36:37], v[6:7], -v[14:15]
	v_add_f64 v[16:17], v[38:39], -v[16:17]
	;; [unrolled: 1-line block ×3, first 2 shown]
	v_mul_f64 v[20:21], v[42:43], s[0:1]
	v_mul_f64 v[24:25], v[44:45], s[0:1]
	;; [unrolled: 1-line block ×4, first 2 shown]
	s_movk_i32 s0, 0x51
	v_cmp_gt_u32_e64 s[0:1], s0, v40
	s_and_saveexec_b64 s[6:7], s[0:1]
	s_cbranch_execz .LBB0_15
; %bb.14:
	v_add_f64 v[8:9], v[0:1], -v[8:9]
	v_fma_f64 v[4:5], v[4:5], 2.0, -v[28:29]
	v_fma_f64 v[38:39], v[38:39], 2.0, -v[16:17]
	v_add_f64 v[46:47], v[36:37], v[8:9]
	v_fma_f64 v[0:1], v[0:1], 2.0, -v[8:9]
	v_fma_f64 v[8:9], v[8:9], 2.0, -v[46:47]
	v_add_f64 v[4:5], v[0:1], -v[4:5]
	v_add_f64 v[12:13], v[20:21], v[46:47]
	v_add_f64 v[42:43], v[8:9], -v[18:19]
	v_fma_f64 v[0:1], v[0:1], 2.0, -v[4:5]
	v_add_f64 v[14:15], v[24:25], v[12:13]
	v_add_f64 v[12:13], v[30:31], v[4:5]
	;; [unrolled: 1-line block ×3, first 2 shown]
	v_add_f64 v[42:43], v[0:1], -v[38:39]
	v_fma_f64 v[48:49], v[46:47], 2.0, -v[14:15]
	v_fma_f64 v[46:47], v[4:5], 2.0, -v[12:13]
	v_fma_f64 v[52:53], v[8:9], 2.0, -v[44:45]
	v_fma_f64 v[50:51], v[0:1], 2.0, -v[42:43]
	v_lshl_add_u32 v0, v40, 6, 0
	ds_write_b128 v0, v[46:49] offset:16
	ds_write_b128 v0, v[42:45] offset:32
	ds_write_b128 v0, v[50:53]
	ds_write_b128 v0, v[12:15] offset:48
.LBB0_15:
	s_or_b64 exec, exec, s[6:7]
	v_lshl_add_u32 v8, v40, 3, 0
	s_waitcnt lgkmcnt(0)
	s_barrier
	ds_read2_b64 v[12:15], v8 offset1:216
	ds_read_b64 v[0:1], v8 offset:3456
	s_waitcnt lgkmcnt(0)
	s_barrier
	s_and_saveexec_b64 s[6:7], s[0:1]
	s_cbranch_execz .LBB0_17
; %bb.16:
	v_add_f64 v[4:5], v[2:3], -v[10:11]
	v_fma_f64 v[6:7], v[6:7], 2.0, -v[36:37]
	v_fma_f64 v[26:27], v[26:27], 2.0, -v[30:31]
	;; [unrolled: 1-line block ×3, first 2 shown]
	v_add_f64 v[9:10], v[4:5], -v[28:29]
	v_add_f64 v[6:7], v[2:3], -v[6:7]
	v_fma_f64 v[28:29], v[4:5], 2.0, -v[9:10]
	v_add_f64 v[4:5], v[24:25], v[9:10]
	v_fma_f64 v[24:25], v[2:3], 2.0, -v[6:7]
	v_add_f64 v[22:23], v[28:29], -v[22:23]
	v_add_f64 v[2:3], v[6:7], -v[16:17]
	;; [unrolled: 1-line block ×5, first 2 shown]
	v_fma_f64 v[20:21], v[6:7], 2.0, -v[2:3]
	v_fma_f64 v[22:23], v[9:10], 2.0, -v[4:5]
	v_mad_u32_u24 v6, v40, 56, v8
	v_fma_f64 v[24:25], v[24:25], 2.0, -v[16:17]
	v_fma_f64 v[26:27], v[28:29], 2.0, -v[18:19]
	ds_write_b128 v6, v[20:23] offset:16
	ds_write_b128 v6, v[16:19] offset:32
	ds_write_b128 v6, v[24:27]
	ds_write_b128 v6, v[2:5] offset:48
.LBB0_17:
	s_or_b64 exec, exec, s[6:7]
	v_and_b32_e32 v11, 7, v40
	v_lshlrev_b32_e32 v6, 5, v11
	s_waitcnt lgkmcnt(0)
	s_barrier
	global_load_dwordx4 v[2:5], v6, s[12:13]
	global_load_dwordx4 v[16:19], v6, s[12:13] offset:16
	ds_read2_b64 v[20:23], v8 offset1:216
	ds_read_b64 v[6:7], v8 offset:3456
	s_movk_i32 s8, 0xab
	s_mov_b32 s0, 0xe8584caa
	s_mov_b32 s1, 0xbfebb67a
	;; [unrolled: 1-line block ×4, first 2 shown]
	s_waitcnt vmcnt(0) lgkmcnt(0)
	s_barrier
	v_mov_b32_e32 v28, 3
	v_mul_f64 v[9:10], v[22:23], v[4:5]
	v_mul_f64 v[24:25], v[6:7], v[18:19]
	;; [unrolled: 1-line block ×4, first 2 shown]
	v_fma_f64 v[9:10], v[14:15], v[2:3], v[9:10]
	v_fma_f64 v[0:1], v[0:1], v[16:17], v[24:25]
	v_fma_f64 v[2:3], v[22:23], v[2:3], -v[4:5]
	v_fma_f64 v[4:5], v[6:7], v[16:17], -v[18:19]
	v_lshrrev_b32_e32 v14, 3, v40
	v_mul_u32_u24_e32 v22, 24, v14
	v_or_b32_e32 v11, v22, v11
	v_lshl_add_u32 v22, v11, 3, 0
	v_add_f64 v[14:15], v[12:13], v[9:10]
	v_add_f64 v[6:7], v[9:10], v[0:1]
	v_add_f64 v[9:10], v[9:10], -v[0:1]
	v_add_f64 v[16:17], v[2:3], v[4:5]
	v_add_f64 v[18:19], v[2:3], -v[4:5]
	v_add_f64 v[2:3], v[20:21], v[2:3]
	v_mul_lo_u16_sdwa v23, v40, s8 dst_sel:DWORD dst_unused:UNUSED_PAD src0_sel:BYTE_0 src1_sel:DWORD
	v_lshrrev_b16_e32 v26, 12, v23
	v_add_f64 v[0:1], v[14:15], v[0:1]
	v_fma_f64 v[6:7], v[6:7], -0.5, v[12:13]
	v_mul_lo_u16_e32 v15, 24, v26
	v_fma_f64 v[11:12], v[16:17], -0.5, v[20:21]
	v_sub_u16_e32 v27, v40, v15
	v_add_f64 v[4:5], v[2:3], v[4:5]
	v_mov_b32_e32 v25, 5
	v_fma_f64 v[13:14], v[18:19], s[0:1], v[6:7]
	v_fma_f64 v[6:7], v[18:19], s[6:7], v[6:7]
	;; [unrolled: 1-line block ×4, first 2 shown]
	v_lshlrev_b32_sdwa v19, v25, v27 dst_sel:DWORD dst_unused:UNUSED_PAD src0_sel:DWORD src1_sel:BYTE_0
	ds_write2_b64 v22, v[0:1], v[13:14] offset1:8
	ds_write_b64 v22, v[6:7] offset:128
	s_waitcnt lgkmcnt(0)
	s_barrier
	ds_read2_b64 v[0:3], v8 offset1:216
	ds_read_b64 v[17:18], v8 offset:3456
	s_waitcnt lgkmcnt(0)
	s_barrier
	ds_write2_b64 v22, v[4:5], v[15:16] offset1:8
	ds_write_b64 v22, v[9:10] offset:128
	s_waitcnt lgkmcnt(0)
	s_barrier
	global_load_dwordx4 v[4:7], v19, s[12:13] offset:256
	global_load_dwordx4 v[9:12], v19, s[12:13] offset:272
	ds_read2_b64 v[13:16], v8 offset1:216
	ds_read_b64 v[19:20], v8 offset:3456
	s_waitcnt vmcnt(0) lgkmcnt(0)
	s_barrier
	v_mul_f64 v[21:22], v[15:16], v[6:7]
	v_mul_f64 v[23:24], v[19:20], v[11:12]
	;; [unrolled: 1-line block ×4, first 2 shown]
	v_fma_f64 v[2:3], v[2:3], v[4:5], v[21:22]
	v_fma_f64 v[17:18], v[17:18], v[9:10], v[23:24]
	v_fma_f64 v[4:5], v[15:16], v[4:5], -v[6:7]
	v_fma_f64 v[6:7], v[19:20], v[9:10], -v[11:12]
	v_mov_b32_e32 v21, 57
	v_mul_lo_u16_sdwa v11, v40, v21 dst_sel:DWORD dst_unused:UNUSED_PAD src0_sel:BYTE_0 src1_sel:DWORD
	v_lshrrev_b16_e32 v29, 12, v11
	v_mul_lo_u16_e32 v11, 0x48, v29
	v_mul_u32_u24_e32 v21, 0x240, v26
	v_add_f64 v[9:10], v[2:3], v[17:18]
	v_sub_u16_e32 v26, v40, v11
	v_add_f64 v[15:16], v[4:5], v[6:7]
	v_add_f64 v[11:12], v[0:1], v[2:3]
	v_add_f64 v[19:20], v[4:5], -v[6:7]
	v_add_f64 v[4:5], v[13:14], v[4:5]
	v_add_f64 v[2:3], v[2:3], -v[17:18]
	v_lshlrev_b32_sdwa v22, v25, v26 dst_sel:DWORD dst_unused:UNUSED_PAD src0_sel:DWORD src1_sel:BYTE_0
	v_fma_f64 v[0:1], v[9:10], -0.5, v[0:1]
	v_lshlrev_b32_sdwa v9, v28, v27 dst_sel:DWORD dst_unused:UNUSED_PAD src0_sel:DWORD src1_sel:BYTE_0
	v_add3_u32 v21, 0, v21, v9
	v_fma_f64 v[9:10], v[15:16], -0.5, v[13:14]
	v_add_f64 v[11:12], v[11:12], v[17:18]
	v_add_f64 v[4:5], v[4:5], v[6:7]
	v_fma_f64 v[13:14], v[19:20], s[0:1], v[0:1]
	v_fma_f64 v[0:1], v[19:20], s[6:7], v[0:1]
	ds_write2_b64 v21, v[11:12], v[13:14] offset1:24
	ds_write_b64 v21, v[0:1] offset:384
	v_fma_f64 v[6:7], v[2:3], s[6:7], v[9:10]
	v_fma_f64 v[9:10], v[2:3], s[0:1], v[9:10]
	s_waitcnt lgkmcnt(0)
	s_barrier
	ds_read2_b64 v[0:3], v8 offset1:216
	ds_read_b64 v[17:18], v8 offset:3456
	s_waitcnt lgkmcnt(0)
	s_barrier
	ds_write2_b64 v21, v[4:5], v[6:7] offset1:24
	ds_write_b64 v21, v[9:10] offset:384
	s_waitcnt lgkmcnt(0)
	s_barrier
	global_load_dwordx4 v[4:7], v22, s[12:13] offset:1024
	global_load_dwordx4 v[9:12], v22, s[12:13] offset:1040
	ds_read2_b64 v[13:16], v8 offset1:216
	ds_read_b64 v[19:20], v8 offset:3456
	s_waitcnt vmcnt(0) lgkmcnt(0)
	s_barrier
	v_mul_f64 v[21:22], v[15:16], v[6:7]
	v_mul_f64 v[23:24], v[19:20], v[11:12]
	;; [unrolled: 1-line block ×4, first 2 shown]
	v_fma_f64 v[2:3], v[2:3], v[4:5], v[21:22]
	v_fma_f64 v[17:18], v[17:18], v[9:10], v[23:24]
	v_fma_f64 v[4:5], v[15:16], v[4:5], -v[6:7]
	v_fma_f64 v[6:7], v[19:20], v[9:10], -v[11:12]
	v_add_f64 v[11:12], v[0:1], v[2:3]
	v_add_f64 v[9:10], v[2:3], v[17:18]
	v_add_f64 v[2:3], v[2:3], -v[17:18]
	v_add_f64 v[15:16], v[4:5], v[6:7]
	v_add_f64 v[19:20], v[4:5], -v[6:7]
	v_add_f64 v[4:5], v[13:14], v[4:5]
	v_add_f64 v[11:12], v[11:12], v[17:18]
	v_fma_f64 v[0:1], v[9:10], -0.5, v[0:1]
	v_mul_u32_u24_e32 v9, 0x6c0, v29
	v_lshlrev_b32_sdwa v10, v28, v26 dst_sel:DWORD dst_unused:UNUSED_PAD src0_sel:DWORD src1_sel:BYTE_0
	v_add3_u32 v21, 0, v9, v10
	v_fma_f64 v[9:10], v[15:16], -0.5, v[13:14]
	v_add_f64 v[6:7], v[4:5], v[6:7]
	v_fma_f64 v[13:14], v[19:20], s[0:1], v[0:1]
	v_fma_f64 v[0:1], v[19:20], s[6:7], v[0:1]
	ds_write2_b64 v21, v[11:12], v[13:14] offset1:72
	ds_write_b64 v21, v[0:1] offset:1152
	v_fma_f64 v[15:16], v[2:3], s[6:7], v[9:10]
	v_fma_f64 v[9:10], v[2:3], s[0:1], v[9:10]
	s_waitcnt lgkmcnt(0)
	s_barrier
	ds_read2_b64 v[0:3], v8 offset1:216
	ds_read_b64 v[4:5], v8 offset:3456
	s_waitcnt lgkmcnt(0)
	s_barrier
	ds_write2_b64 v21, v[6:7], v[15:16] offset1:72
	ds_write_b64 v21, v[9:10] offset:1152
	s_waitcnt lgkmcnt(0)
	s_barrier
	s_and_saveexec_b64 s[8:9], vcc
	s_cbranch_execz .LBB0_19
; %bb.18:
	v_lshlrev_b32_e32 v6, 1, v40
	v_mov_b32_e32 v7, 0
	v_lshlrev_b64 v[6:7], 4, v[6:7]
	v_mov_b32_e32 v9, s13
	v_add_co_u32_e32 v6, vcc, s12, v6
	v_addc_co_u32_e32 v7, vcc, v9, v7, vcc
	global_load_dwordx4 v[9:12], v[6:7], off offset:3328
	global_load_dwordx4 v[13:16], v[6:7], off offset:3344
	v_mul_lo_u32 v31, s5, v34
	v_mul_lo_u32 v35, s4, v35
	v_mad_u64_u32 v[6:7], s[4:5], s4, v34, 0
	v_mad_u64_u32 v[23:24], s[4:5], s2, v41, 0
	v_lshlrev_b64 v[25:26], 4, v[32:33]
	v_add_u32_e32 v33, 0xd8, v41
	v_add_u32_e32 v34, 0x1b0, v41
	v_mad_u64_u32 v[27:28], s[4:5], s2, v33, 0
	v_mad_u64_u32 v[29:30], s[4:5], s2, v34, 0
	ds_read2_b64 v[17:20], v8 offset1:216
	ds_read_b64 v[21:22], v8 offset:3456
	v_mov_b32_e32 v8, v24
	v_add3_u32 v7, v7, v35, v31
	v_mov_b32_e32 v24, v30
	v_lshlrev_b64 v[6:7], 4, v[6:7]
	v_mov_b32_e32 v38, s11
	s_waitcnt vmcnt(1)
	v_mad_u64_u32 v[31:32], s[4:5], s3, v41, v[8:9]
	v_mov_b32_e32 v8, v28
	v_mad_u64_u32 v[32:33], s[4:5], s3, v33, v[8:9]
	v_mad_u64_u32 v[33:34], s[2:3], s3, v34, v[24:25]
	v_mul_f64 v[34:35], v[2:3], v[11:12]
	s_waitcnt vmcnt(0)
	v_mul_f64 v[36:37], v[4:5], v[15:16]
	s_waitcnt lgkmcnt(1)
	v_mul_f64 v[11:12], v[19:20], v[11:12]
	s_waitcnt lgkmcnt(0)
	v_mul_f64 v[15:16], v[21:22], v[15:16]
	v_add_co_u32_e32 v8, vcc, s10, v6
	v_addc_co_u32_e32 v24, vcc, v38, v7, vcc
	v_fma_f64 v[6:7], v[19:20], v[9:10], -v[34:35]
	v_fma_f64 v[19:20], v[21:22], v[13:14], -v[36:37]
	v_fma_f64 v[2:3], v[2:3], v[9:10], v[11:12]
	v_fma_f64 v[4:5], v[4:5], v[13:14], v[15:16]
	v_add_co_u32_e32 v34, vcc, v8, v25
	v_mov_b32_e32 v28, v32
	v_addc_co_u32_e32 v35, vcc, v24, v26, vcc
	v_add_f64 v[10:11], v[6:7], v[19:20]
	v_mov_b32_e32 v24, v31
	v_add_f64 v[12:13], v[2:3], v[4:5]
	v_lshlrev_b64 v[14:15], 4, v[27:28]
	v_add_f64 v[25:26], v[17:18], v[6:7]
	v_add_f64 v[27:28], v[6:7], -v[19:20]
	v_add_f64 v[6:7], v[0:1], v[2:3]
	v_lshlrev_b64 v[8:9], 4, v[23:24]
	v_add_f64 v[23:24], v[2:3], -v[4:5]
	v_fma_f64 v[10:11], v[10:11], -0.5, v[17:18]
	v_fma_f64 v[12:13], v[12:13], -0.5, v[0:1]
	v_add_co_u32_e32 v16, vcc, v34, v8
	v_add_f64 v[2:3], v[25:26], v[19:20]
	v_add_f64 v[0:1], v[6:7], v[4:5]
	v_addc_co_u32_e32 v17, vcc, v35, v9, vcc
	v_fma_f64 v[6:7], v[23:24], s[0:1], v[10:11]
	v_fma_f64 v[10:11], v[23:24], s[6:7], v[10:11]
	;; [unrolled: 1-line block ×4, first 2 shown]
	v_mov_b32_e32 v30, v33
	v_lshlrev_b64 v[21:22], 4, v[29:30]
	v_add_co_u32_e32 v12, vcc, v34, v14
	v_addc_co_u32_e32 v13, vcc, v35, v15, vcc
	v_add_co_u32_e32 v14, vcc, v34, v21
	v_addc_co_u32_e32 v15, vcc, v35, v22, vcc
	global_store_dwordx4 v[16:17], v[0:3], off
	global_store_dwordx4 v[12:13], v[8:11], off
	;; [unrolled: 1-line block ×3, first 2 shown]
.LBB0_19:
	s_endpgm
	.section	.rodata,"a",@progbits
	.p2align	6, 0x0
	.amdhsa_kernel fft_rtc_back_len648_factors_8_3_3_3_3_wgs_216_tpt_216_halfLds_dp_op_CI_CI_sbrr_dirReg
		.amdhsa_group_segment_fixed_size 0
		.amdhsa_private_segment_fixed_size 0
		.amdhsa_kernarg_size 104
		.amdhsa_user_sgpr_count 6
		.amdhsa_user_sgpr_private_segment_buffer 1
		.amdhsa_user_sgpr_dispatch_ptr 0
		.amdhsa_user_sgpr_queue_ptr 0
		.amdhsa_user_sgpr_kernarg_segment_ptr 1
		.amdhsa_user_sgpr_dispatch_id 0
		.amdhsa_user_sgpr_flat_scratch_init 0
		.amdhsa_user_sgpr_private_segment_size 0
		.amdhsa_uses_dynamic_stack 0
		.amdhsa_system_sgpr_private_segment_wavefront_offset 0
		.amdhsa_system_sgpr_workgroup_id_x 1
		.amdhsa_system_sgpr_workgroup_id_y 0
		.amdhsa_system_sgpr_workgroup_id_z 0
		.amdhsa_system_sgpr_workgroup_info 0
		.amdhsa_system_vgpr_workitem_id 0
		.amdhsa_next_free_vgpr 54
		.amdhsa_next_free_sgpr 32
		.amdhsa_reserve_vcc 1
		.amdhsa_reserve_flat_scratch 0
		.amdhsa_float_round_mode_32 0
		.amdhsa_float_round_mode_16_64 0
		.amdhsa_float_denorm_mode_32 3
		.amdhsa_float_denorm_mode_16_64 3
		.amdhsa_dx10_clamp 1
		.amdhsa_ieee_mode 1
		.amdhsa_fp16_overflow 0
		.amdhsa_exception_fp_ieee_invalid_op 0
		.amdhsa_exception_fp_denorm_src 0
		.amdhsa_exception_fp_ieee_div_zero 0
		.amdhsa_exception_fp_ieee_overflow 0
		.amdhsa_exception_fp_ieee_underflow 0
		.amdhsa_exception_fp_ieee_inexact 0
		.amdhsa_exception_int_div_zero 0
	.end_amdhsa_kernel
	.text
.Lfunc_end0:
	.size	fft_rtc_back_len648_factors_8_3_3_3_3_wgs_216_tpt_216_halfLds_dp_op_CI_CI_sbrr_dirReg, .Lfunc_end0-fft_rtc_back_len648_factors_8_3_3_3_3_wgs_216_tpt_216_halfLds_dp_op_CI_CI_sbrr_dirReg
                                        ; -- End function
	.section	.AMDGPU.csdata,"",@progbits
; Kernel info:
; codeLenInByte = 3972
; NumSgprs: 36
; NumVgprs: 54
; ScratchSize: 0
; MemoryBound: 1
; FloatMode: 240
; IeeeMode: 1
; LDSByteSize: 0 bytes/workgroup (compile time only)
; SGPRBlocks: 4
; VGPRBlocks: 13
; NumSGPRsForWavesPerEU: 36
; NumVGPRsForWavesPerEU: 54
; Occupancy: 4
; WaveLimiterHint : 1
; COMPUTE_PGM_RSRC2:SCRATCH_EN: 0
; COMPUTE_PGM_RSRC2:USER_SGPR: 6
; COMPUTE_PGM_RSRC2:TRAP_HANDLER: 0
; COMPUTE_PGM_RSRC2:TGID_X_EN: 1
; COMPUTE_PGM_RSRC2:TGID_Y_EN: 0
; COMPUTE_PGM_RSRC2:TGID_Z_EN: 0
; COMPUTE_PGM_RSRC2:TIDIG_COMP_CNT: 0
	.type	__hip_cuid_9bd404d0dd63e85e,@object ; @__hip_cuid_9bd404d0dd63e85e
	.section	.bss,"aw",@nobits
	.globl	__hip_cuid_9bd404d0dd63e85e
__hip_cuid_9bd404d0dd63e85e:
	.byte	0                               ; 0x0
	.size	__hip_cuid_9bd404d0dd63e85e, 1

	.ident	"AMD clang version 19.0.0git (https://github.com/RadeonOpenCompute/llvm-project roc-6.4.0 25133 c7fe45cf4b819c5991fe208aaa96edf142730f1d)"
	.section	".note.GNU-stack","",@progbits
	.addrsig
	.addrsig_sym __hip_cuid_9bd404d0dd63e85e
	.amdgpu_metadata
---
amdhsa.kernels:
  - .args:
      - .actual_access:  read_only
        .address_space:  global
        .offset:         0
        .size:           8
        .value_kind:     global_buffer
      - .offset:         8
        .size:           8
        .value_kind:     by_value
      - .actual_access:  read_only
        .address_space:  global
        .offset:         16
        .size:           8
        .value_kind:     global_buffer
      - .actual_access:  read_only
        .address_space:  global
        .offset:         24
        .size:           8
        .value_kind:     global_buffer
      - .actual_access:  read_only
        .address_space:  global
        .offset:         32
        .size:           8
        .value_kind:     global_buffer
      - .offset:         40
        .size:           8
        .value_kind:     by_value
      - .actual_access:  read_only
        .address_space:  global
        .offset:         48
        .size:           8
        .value_kind:     global_buffer
      - .actual_access:  read_only
        .address_space:  global
        .offset:         56
        .size:           8
        .value_kind:     global_buffer
      - .offset:         64
        .size:           4
        .value_kind:     by_value
      - .actual_access:  read_only
        .address_space:  global
        .offset:         72
        .size:           8
        .value_kind:     global_buffer
      - .actual_access:  read_only
        .address_space:  global
        .offset:         80
        .size:           8
        .value_kind:     global_buffer
      - .actual_access:  read_only
        .address_space:  global
        .offset:         88
        .size:           8
        .value_kind:     global_buffer
      - .actual_access:  write_only
        .address_space:  global
        .offset:         96
        .size:           8
        .value_kind:     global_buffer
    .group_segment_fixed_size: 0
    .kernarg_segment_align: 8
    .kernarg_segment_size: 104
    .language:       OpenCL C
    .language_version:
      - 2
      - 0
    .max_flat_workgroup_size: 216
    .name:           fft_rtc_back_len648_factors_8_3_3_3_3_wgs_216_tpt_216_halfLds_dp_op_CI_CI_sbrr_dirReg
    .private_segment_fixed_size: 0
    .sgpr_count:     36
    .sgpr_spill_count: 0
    .symbol:         fft_rtc_back_len648_factors_8_3_3_3_3_wgs_216_tpt_216_halfLds_dp_op_CI_CI_sbrr_dirReg.kd
    .uniform_work_group_size: 1
    .uses_dynamic_stack: false
    .vgpr_count:     54
    .vgpr_spill_count: 0
    .wavefront_size: 64
amdhsa.target:   amdgcn-amd-amdhsa--gfx906
amdhsa.version:
  - 1
  - 2
...

	.end_amdgpu_metadata
